;; amdgpu-corpus repo=ROCm/rocFFT kind=compiled arch=gfx906 opt=O3
	.text
	.amdgcn_target "amdgcn-amd-amdhsa--gfx906"
	.amdhsa_code_object_version 6
	.protected	bluestein_single_back_len128_dim1_sp_op_CI_CI ; -- Begin function bluestein_single_back_len128_dim1_sp_op_CI_CI
	.globl	bluestein_single_back_len128_dim1_sp_op_CI_CI
	.p2align	8
	.type	bluestein_single_back_len128_dim1_sp_op_CI_CI,@function
bluestein_single_back_len128_dim1_sp_op_CI_CI: ; @bluestein_single_back_len128_dim1_sp_op_CI_CI
; %bb.0:
	s_load_dwordx4 s[0:3], s[4:5], 0x28
	v_lshrrev_b32_e32 v1, 4, v0
	v_lshl_or_b32 v44, s6, 4, v1
	v_mov_b32_e32 v45, 0
	s_waitcnt lgkmcnt(0)
	v_cmp_gt_u64_e32 vcc, s[0:1], v[44:45]
	s_and_saveexec_b64 s[0:1], vcc
	s_cbranch_execz .LBB0_15
; %bb.1:
	s_load_dwordx2 s[6:7], s[4:5], 0x0
	s_load_dwordx2 s[12:13], s[4:5], 0x38
	v_and_b32_e32 v47, 15, v0
	v_lshlrev_b32_e32 v33, 7, v1
	v_cmp_gt_u32_e32 vcc, 8, v47
	v_lshlrev_b32_e32 v49, 3, v47
	v_or_b32_e32 v32, v33, v47
	v_or_b32_e32 v52, 8, v47
	v_add_lshl_u32 v48, v33, v47, 3
	v_or_b32_e32 v53, 24, v47
	v_or_b32_e32 v51, 40, v47
	;; [unrolled: 1-line block ×3, first 2 shown]
	s_and_saveexec_b64 s[14:15], vcc
	s_cbranch_execz .LBB0_3
; %bb.2:
	s_load_dwordx2 s[0:1], s[4:5], 0x18
	v_mov_b32_e32 v8, s3
	v_or_b32_e32 v64, 0x68, v47
	s_waitcnt lgkmcnt(0)
	s_load_dwordx4 s[8:11], s[0:1], 0x0
	s_waitcnt lgkmcnt(0)
	v_mad_u64_u32 v[0:1], s[0:1], s10, v44, 0
	v_mad_u64_u32 v[2:3], s[0:1], s8, v47, 0
	;; [unrolled: 1-line block ×5, first 2 shown]
	v_mov_b32_e32 v1, v4
	v_lshlrev_b64 v[0:1], 3, v[0:1]
	v_mov_b32_e32 v3, v5
	v_add_co_u32_e64 v31, s[0:1], s2, v0
	v_mov_b32_e32 v0, v7
	v_addc_co_u32_e64 v78, s[0:1], v8, v1, s[0:1]
	v_mad_u64_u32 v[0:1], s[0:1], s9, v52, v[0:1]
	v_lshlrev_b64 v[2:3], 3, v[2:3]
	s_lshl_b64 s[2:3], s[8:9], 7
	v_add_co_u32_e64 v1, s[0:1], v31, v2
	v_mov_b32_e32 v7, v0
	v_addc_co_u32_e64 v2, s[0:1], v78, v3, s[0:1]
	v_lshlrev_b64 v[3:4], 3, v[6:7]
	v_mad_u64_u32 v[5:6], s[0:1], s8, v53, 0
	v_add_co_u32_e64 v3, s[0:1], v31, v3
	v_mov_b32_e32 v0, v6
	v_addc_co_u32_e64 v4, s[0:1], v78, v4, s[0:1]
	v_mad_u64_u32 v[6:7], s[0:1], s9, v53, v[0:1]
	v_mov_b32_e32 v69, s3
	v_add_co_u32_e64 v7, s[0:1], s2, v1
	v_lshlrev_b64 v[5:6], 3, v[5:6]
	v_addc_co_u32_e64 v8, s[0:1], v2, v69, s[0:1]
	v_add_co_u32_e64 v5, s[0:1], v31, v5
	v_addc_co_u32_e64 v6, s[0:1], v78, v6, s[0:1]
	global_load_dwordx2 v[9:10], v[1:2], off
	global_load_dwordx2 v[11:12], v[3:4], off
	;; [unrolled: 1-line block ×4, first 2 shown]
	s_nop 0
	global_load_dwordx2 v[4:5], v49, s[6:7]
	global_load_dwordx2 v[17:18], v49, s[6:7] offset:64
	global_load_dwordx2 v[19:20], v49, s[6:7] offset:128
	;; [unrolled: 1-line block ×3, first 2 shown]
	v_mad_u64_u32 v[0:1], s[0:1], s8, v51, 0
	v_mad_u64_u32 v[2:3], s[0:1], s8, v50, 0
	;; [unrolled: 1-line block ×3, first 2 shown]
	v_mov_b32_e32 v1, v23
	v_lshlrev_b64 v[0:1], 3, v[0:1]
	s_waitcnt vmcnt(3)
	v_mad_u64_u32 v[24:25], s[0:1], s9, v50, v[3:4]
	v_add_co_u32_e64 v6, s[0:1], s2, v7
	v_addc_co_u32_e64 v7, s[0:1], v8, v69, s[0:1]
	v_add_co_u32_e64 v0, s[0:1], v31, v0
	v_mov_b32_e32 v3, v24
	v_addc_co_u32_e64 v1, s[0:1], v78, v1, s[0:1]
	v_lshlrev_b64 v[2:3], 3, v[2:3]
	v_add_co_u32_e64 v23, s[0:1], s2, v6
	v_addc_co_u32_e64 v24, s[0:1], v7, v69, s[0:1]
	v_add_co_u32_e64 v2, s[0:1], v31, v2
	v_addc_co_u32_e64 v3, s[0:1], v78, v3, s[0:1]
	global_load_dwordx2 v[25:26], v[6:7], off
	global_load_dwordx2 v[27:28], v[0:1], off
	;; [unrolled: 1-line block ×4, first 2 shown]
	s_nop 0
	global_load_dwordx2 v[2:3], v49, s[6:7] offset:256
	global_load_dwordx2 v[6:7], v49, s[6:7] offset:320
	;; [unrolled: 1-line block ×4, first 2 shown]
	v_or_b32_e32 v8, 0x48, v47
	v_mad_u64_u32 v[0:1], s[0:1], s8, v8, 0
	s_waitcnt vmcnt(3)
	v_mad_u64_u32 v[40:41], s[0:1], s9, v8, v[1:2]
	v_add_co_u32_e64 v23, s[0:1], s2, v23
	v_or_b32_e32 v8, 0x58, v47
	v_addc_co_u32_e64 v24, s[0:1], v24, v69, s[0:1]
	v_mov_b32_e32 v1, v40
	v_mad_u64_u32 v[40:41], s[0:1], s8, v8, 0
	v_lshlrev_b64 v[0:1], 3, v[0:1]
	v_add_co_u32_e64 v0, s[0:1], v31, v0
	v_addc_co_u32_e64 v1, s[0:1], v78, v1, s[0:1]
	global_load_dwordx2 v[42:43], v[23:24], off
	global_load_dwordx2 v[45:46], v[0:1], off
	v_mov_b32_e32 v0, v41
	v_mad_u64_u32 v[0:1], s[0:1], s9, v8, v[0:1]
	v_add_co_u32_e64 v23, s[0:1], s2, v23
	v_mov_b32_e32 v41, v0
	v_lshlrev_b64 v[0:1], 3, v[40:41]
	v_addc_co_u32_e64 v24, s[0:1], v24, v69, s[0:1]
	v_add_co_u32_e64 v0, s[0:1], v31, v0
	v_addc_co_u32_e64 v1, s[0:1], v78, v1, s[0:1]
	v_mad_u64_u32 v[40:41], s[0:1], s8, v64, 0
	global_load_dwordx2 v[54:55], v[23:24], off
	v_mov_b32_e32 v8, v41
	v_mad_u64_u32 v[64:65], s[0:1], s9, v64, v[8:9]
	v_add_co_u32_e64 v23, s[0:1], s2, v23
	v_mov_b32_e32 v41, v64
	v_lshlrev_b64 v[40:41], 3, v[40:41]
	v_addc_co_u32_e64 v24, s[0:1], v24, v69, s[0:1]
	v_add_co_u32_e64 v40, s[0:1], v31, v40
	v_or_b32_e32 v64, 0x78, v47
	v_addc_co_u32_e64 v41, s[0:1], v78, v41, s[0:1]
	v_mad_u64_u32 v[67:68], s[0:1], s8, v64, 0
	global_load_dwordx2 v[0:1], v[0:1], off
	s_nop 0
	global_load_dwordx2 v[56:57], v49, s[6:7] offset:512
	global_load_dwordx2 v[58:59], v49, s[6:7] offset:576
	;; [unrolled: 1-line block ×4, first 2 shown]
	global_load_dwordx2 v[65:66], v[23:24], off
	v_add_co_u32_e64 v23, s[0:1], s2, v23
	v_mov_b32_e32 v8, v68
	v_addc_co_u32_e64 v24, s[0:1], v24, v69, s[0:1]
	v_mad_u64_u32 v[71:72], s[0:1], s9, v64, v[8:9]
	global_load_dwordx2 v[40:41], v[40:41], off
	v_mul_f32_e32 v8, v12, v18
	v_mov_b32_e32 v68, v71
	global_load_dwordx2 v[69:70], v49, s[6:7] offset:768
	global_load_dwordx2 v[72:73], v[23:24], off
	global_load_dwordx2 v[74:75], v49, s[6:7] offset:832
	global_load_dwordx2 v[76:77], v49, s[6:7] offset:896
	v_lshlrev_b64 v[23:24], 3, v[67:68]
	v_fmac_f32_e32 v8, v11, v17
	v_add_co_u32_e64 v23, s[0:1], v31, v23
	v_addc_co_u32_e64 v24, s[0:1], v78, v24, s[0:1]
	global_load_dwordx2 v[67:68], v[23:24], off
	global_load_dwordx2 v[78:79], v49, s[6:7] offset:960
	v_mul_f32_e32 v23, v10, v5
	v_mul_f32_e32 v5, v9, v5
	v_fma_f32 v24, v10, v4, -v5
	v_mul_f32_e32 v5, v11, v18
	v_fmac_f32_e32 v23, v9, v4
	v_fma_f32 v9, v12, v17, -v5
	v_mul_f32_e32 v4, v14, v20
	v_mul_f32_e32 v5, v13, v20
	v_lshlrev_b32_e32 v31, 3, v32
	v_fmac_f32_e32 v4, v13, v19
	v_fma_f32 v5, v14, v19, -v5
	v_mul_f32_e32 v10, v16, v22
	v_mul_f32_e32 v11, v15, v22
	ds_write_b64 v31, v[23:24]
	ds_write2_b64 v48, v[8:9], v[4:5] offset0:8 offset1:16
	v_mul_f32_e32 v4, v26, v3
	v_mul_f32_e32 v3, v25, v3
	v_fmac_f32_e32 v10, v15, v21
	v_fma_f32 v11, v16, v21, -v11
	v_fmac_f32_e32 v4, v25, v2
	v_fma_f32 v5, v26, v2, -v3
	ds_write2_b64 v48, v[10:11], v[4:5] offset0:24 offset1:32
	s_waitcnt vmcnt(18)
	v_mul_f32_e32 v2, v28, v7
	v_mul_f32_e32 v3, v27, v7
	s_waitcnt vmcnt(17)
	v_mul_f32_e32 v4, v30, v37
	v_mul_f32_e32 v5, v29, v37
	v_fmac_f32_e32 v2, v27, v6
	v_fma_f32 v3, v28, v6, -v3
	v_fmac_f32_e32 v4, v29, v36
	v_fma_f32 v5, v30, v36, -v5
	ds_write2_b64 v48, v[2:3], v[4:5] offset0:40 offset1:48
	s_waitcnt vmcnt(16)
	v_mul_f32_e32 v2, v35, v39
	v_mul_f32_e32 v3, v34, v39
	v_fmac_f32_e32 v2, v34, v38
	v_fma_f32 v3, v35, v38, -v3
	s_waitcnt vmcnt(11)
	v_mul_f32_e32 v4, v43, v57
	v_mul_f32_e32 v5, v42, v57
	v_fmac_f32_e32 v4, v42, v56
	v_fma_f32 v5, v43, v56, -v5
	ds_write2_b64 v48, v[2:3], v[4:5] offset0:56 offset1:64
	s_waitcnt vmcnt(10)
	v_mul_f32_e32 v2, v46, v59
	v_mul_f32_e32 v3, v45, v59
	s_waitcnt vmcnt(9)
	v_mul_f32_e32 v4, v55, v61
	v_mul_f32_e32 v5, v54, v61
	v_fmac_f32_e32 v2, v45, v58
	v_fma_f32 v3, v46, v58, -v3
	v_fmac_f32_e32 v4, v54, v60
	v_fma_f32 v5, v55, v60, -v5
	ds_write2_b64 v48, v[2:3], v[4:5] offset0:72 offset1:80
	s_waitcnt vmcnt(8)
	v_mul_f32_e32 v2, v1, v63
	v_fmac_f32_e32 v2, v0, v62
	v_mul_f32_e32 v0, v0, v63
	v_fma_f32 v3, v1, v62, -v0
	s_waitcnt vmcnt(5)
	v_mul_f32_e32 v0, v66, v70
	v_mul_f32_e32 v1, v65, v70
	v_fmac_f32_e32 v0, v65, v69
	v_fma_f32 v1, v66, v69, -v1
	ds_write2_b64 v48, v[2:3], v[0:1] offset0:88 offset1:96
	s_waitcnt vmcnt(3)
	v_mul_f32_e32 v0, v41, v75
	v_mul_f32_e32 v1, v40, v75
	s_waitcnt vmcnt(2)
	v_mul_f32_e32 v2, v73, v77
	v_mul_f32_e32 v3, v72, v77
	v_fmac_f32_e32 v0, v40, v74
	v_fma_f32 v1, v41, v74, -v1
	v_fmac_f32_e32 v2, v72, v76
	v_fma_f32 v3, v73, v76, -v3
	ds_write2_b64 v48, v[0:1], v[2:3] offset0:104 offset1:112
	s_waitcnt vmcnt(0)
	v_mul_f32_e32 v0, v68, v79
	v_mul_f32_e32 v1, v67, v79
	v_fmac_f32_e32 v0, v67, v78
	v_fma_f32 v1, v68, v78, -v1
	ds_write_b64 v48, v[0:1] offset:960
.LBB0_3:
	s_or_b64 exec, exec, s[14:15]
	s_load_dwordx2 s[0:1], s[4:5], 0x20
	s_load_dwordx2 s[8:9], s[4:5], 0x8
	s_waitcnt lgkmcnt(0)
	s_barrier
	s_waitcnt lgkmcnt(0)
                                        ; implicit-def: $vgpr21
                                        ; implicit-def: $vgpr30
                                        ; implicit-def: $vgpr18
                                        ; implicit-def: $vgpr26
                                        ; implicit-def: $vgpr6
                                        ; implicit-def: $vgpr14
                                        ; implicit-def: $vgpr2
                                        ; implicit-def: $vgpr10
	s_and_saveexec_b64 s[2:3], vcc
	s_cbranch_execz .LBB0_5
; %bb.4:
	v_lshlrev_b32_e32 v20, 3, v32
	ds_read2_b64 v[8:11], v20 offset1:8
	ds_read2_b64 v[0:3], v20 offset0:16 offset1:24
	ds_read2_b64 v[12:15], v20 offset0:32 offset1:40
	;; [unrolled: 1-line block ×7, first 2 shown]
.LBB0_5:
	s_or_b64 exec, exec, s[2:3]
	s_waitcnt lgkmcnt(3)
	v_sub_f32_e32 v24, v8, v24
	v_sub_f32_e32 v25, v9, v25
	s_waitcnt lgkmcnt(1)
	v_sub_f32_e32 v28, v12, v28
	v_sub_f32_e32 v29, v13, v29
	v_fma_f32 v13, v13, 2.0, -v29
	v_sub_f32_e32 v16, v0, v16
	v_sub_f32_e32 v17, v1, v17
	s_waitcnt lgkmcnt(0)
	v_sub_f32_e32 v20, v4, v20
	v_sub_f32_e32 v21, v5, v21
	;; [unrolled: 1-line block ×5, first 2 shown]
	v_add_f32_e32 v34, v28, v25
	v_fma_f32 v8, v8, 2.0, -v24
	v_fma_f32 v9, v9, 2.0, -v25
	;; [unrolled: 1-line block ×10, first 2 shown]
	v_sub_f32_e32 v21, v16, v21
	v_add_f32_e32 v20, v20, v17
	v_fma_f32 v12, v12, 2.0, -v28
	v_sub_f32_e32 v26, v10, v26
	v_sub_f32_e32 v27, v11, v27
	;; [unrolled: 1-line block ×6, first 2 shown]
	v_fma_f32 v5, v16, 2.0, -v21
	v_fma_f32 v16, v17, 2.0, -v20
	v_sub_f32_e32 v40, v3, v7
	v_mov_b32_e32 v4, v24
	v_mov_b32_e32 v7, v25
	v_sub_f32_e32 v18, v2, v18
	v_sub_f32_e32 v22, v6, v22
	;; [unrolled: 1-line block ×3, first 2 shown]
	v_add_f32_e32 v38, v30, v27
	v_fmac_f32_e32 v4, 0xbf3504f3, v5
	v_fmac_f32_e32 v7, 0xbf3504f3, v16
	v_fma_f32 v10, v10, 2.0, -v26
	v_fma_f32 v11, v11, 2.0, -v27
	;; [unrolled: 1-line block ×8, first 2 shown]
	v_sub_f32_e32 v23, v18, v23
	v_add_f32_e32 v22, v22, v19
	v_fmac_f32_e32 v4, 0xbf3504f3, v16
	v_fmac_f32_e32 v7, 0x3f3504f3, v5
	v_sub_f32_e32 v12, v8, v12
	v_sub_f32_e32 v13, v9, v13
	;; [unrolled: 1-line block ×5, first 2 shown]
	v_fma_f32 v18, v18, 2.0, -v23
	v_fma_f32 v19, v19, 2.0, -v22
	v_fma_f32 v5, v24, 2.0, -v4
	v_fma_f32 v6, v25, 2.0, -v7
	v_mov_b32_e32 v31, v34
	v_mov_b32_e32 v24, v26
	;; [unrolled: 1-line block ×3, first 2 shown]
	v_fma_f32 v8, v8, 2.0, -v12
	v_fma_f32 v0, v0, 2.0, -v28
	;; [unrolled: 1-line block ×5, first 2 shown]
	v_add_f32_e32 v11, v28, v13
	v_mov_b32_e32 v28, v29
	v_fmac_f32_e32 v31, 0x3f3504f3, v20
	v_fmac_f32_e32 v24, 0xbf3504f3, v18
	;; [unrolled: 1-line block ×3, first 2 shown]
	v_sub_f32_e32 v2, v8, v0
	v_sub_f32_e32 v10, v12, v35
	v_fmac_f32_e32 v28, 0x3f3504f3, v21
	v_fmac_f32_e32 v31, 0x3f3504f3, v21
	v_sub_f32_e32 v21, v17, v41
	v_fmac_f32_e32 v24, 0xbf3504f3, v19
	v_fmac_f32_e32 v25, 0x3f3504f3, v18
	v_fma_f32 v9, v9, 2.0, -v13
	v_fma_f32 v1, v1, 2.0, -v35
	;; [unrolled: 1-line block ×7, first 2 shown]
	v_sub_f32_e32 v26, v14, v40
	v_add_f32_e32 v27, v39, v15
	v_fma_f32 v42, v3, 2.0, -v40
	v_sub_f32_e32 v3, v9, v1
	v_fma_f32 v18, v14, 2.0, -v26
	v_fma_f32 v19, v15, 2.0, -v27
	v_mov_b32_e32 v14, v5
	v_mov_b32_e32 v15, v6
	v_fma_f32 v1, v9, 2.0, -v3
	v_fma_f32 v9, v13, 2.0, -v11
	v_fma_f32 v30, v34, 2.0, -v31
	v_mov_b32_e32 v34, v37
	v_mov_b32_e32 v35, v38
	v_fmac_f32_e32 v14, 0xbf6c835e, v16
	v_fmac_f32_e32 v15, 0xbf6c835e, v17
	;; [unrolled: 1-line block ×7, first 2 shown]
	v_mov_b32_e32 v16, v8
	v_mov_b32_e32 v17, v9
	v_fma_f32 v29, v29, 2.0, -v28
	v_fmac_f32_e32 v34, 0xbf3504f3, v22
	v_fmac_f32_e32 v35, 0x3f3504f3, v23
	;; [unrolled: 1-line block ×4, first 2 shown]
	v_fma_f32 v22, v37, 2.0, -v34
	v_fma_f32 v23, v38, 2.0, -v35
	v_fmac_f32_e32 v16, 0xbf3504f3, v19
	v_fmac_f32_e32 v17, 0x3f3504f3, v18
	v_mov_b32_e32 v18, v29
	v_mov_b32_e32 v19, v30
	v_fmac_f32_e32 v18, 0xbec3ef15, v22
	v_fmac_f32_e32 v19, 0xbec3ef15, v23
	v_fmac_f32_e32 v18, 0xbf6c835e, v23
	v_fmac_f32_e32 v19, 0x3f6c835e, v22
	v_mov_b32_e32 v22, v4
	v_mov_b32_e32 v23, v7
	v_fmac_f32_e32 v22, 0x3ec3ef15, v24
	v_fmac_f32_e32 v23, 0x3ec3ef15, v25
	;; [unrolled: 6-line block ×3, first 2 shown]
	v_sub_f32_e32 v20, v36, v42
	v_fmac_f32_e32 v24, 0xbf3504f3, v27
	v_fmac_f32_e32 v25, 0x3f3504f3, v26
	v_mov_b32_e32 v26, v28
	v_mov_b32_e32 v27, v31
	v_fma_f32 v13, v36, 2.0, -v20
	v_fmac_f32_e32 v26, 0x3f6c835e, v34
	v_fmac_f32_e32 v27, 0x3f6c835e, v35
	v_sub_f32_e32 v12, v0, v12
	v_sub_f32_e32 v13, v1, v13
	;; [unrolled: 1-line block ×3, first 2 shown]
	v_add_f32_e32 v21, v21, v3
	v_fmac_f32_e32 v26, 0xbec3ef15, v35
	v_fmac_f32_e32 v27, 0x3ec3ef15, v34
	v_lshlrev_b32_e32 v55, 3, v33
	s_barrier
	s_and_saveexec_b64 s[2:3], vcc
	s_cbranch_execz .LBB0_7
; %bb.6:
	v_fma_f32 v39, v4, 2.0, -v22
	v_fma_f32 v38, v3, 2.0, -v21
	;; [unrolled: 1-line block ×7, first 2 shown]
	v_lshl_or_b32 v4, v47, 7, v55
	v_fma_f32 v36, v31, 2.0, -v27
	v_fma_f32 v35, v28, 2.0, -v26
	;; [unrolled: 1-line block ×9, first 2 shown]
	ds_write_b128 v4, v[0:3]
	ds_write_b128 v4, v[8:11] offset:16
	ds_write_b128 v4, v[37:40] offset:32
	ds_write_b128 v4, v[33:36] offset:48
	ds_write_b128 v4, v[12:15] offset:64
	ds_write_b128 v4, v[16:19] offset:80
	ds_write_b128 v4, v[20:23] offset:96
	ds_write_b128 v4, v[24:27] offset:112
.LBB0_7:
	s_or_b64 exec, exec, s[2:3]
	v_mad_u64_u32 v[56:57], s[4:5], v47, 56, s[8:9]
	v_lshlrev_b32_e32 v54, 3, v32
	s_load_dwordx4 s[0:3], s[0:1], 0x0
	s_waitcnt lgkmcnt(0)
	s_barrier
	ds_read2_b64 v[28:31], v54 offset1:16
	ds_read2_b64 v[32:35], v54 offset0:32 offset1:48
	ds_read2_b64 v[36:39], v54 offset0:64 offset1:80
	;; [unrolled: 1-line block ×3, first 2 shown]
	global_load_dwordx2 v[45:46], v[56:57], off offset:48
	global_load_dwordx4 v[0:3], v[56:57], off offset:32
	global_load_dwordx4 v[4:7], v[56:57], off offset:16
	global_load_dwordx4 v[8:11], v[56:57], off
	s_waitcnt vmcnt(0) lgkmcnt(3)
	v_mul_f32_e32 v56, v31, v9
	v_fma_f32 v56, v30, v8, -v56
	v_mul_f32_e32 v30, v30, v9
	v_fmac_f32_e32 v30, v31, v8
	s_waitcnt lgkmcnt(2)
	v_mul_f32_e32 v31, v33, v11
	v_fma_f32 v31, v32, v10, -v31
	v_mul_f32_e32 v32, v32, v11
	v_fmac_f32_e32 v32, v33, v10
	v_mul_f32_e32 v33, v35, v5
	v_fma_f32 v33, v34, v4, -v33
	v_mul_f32_e32 v34, v34, v5
	v_fmac_f32_e32 v34, v35, v4
	s_waitcnt lgkmcnt(1)
	v_mul_f32_e32 v35, v37, v7
	v_fma_f32 v35, v36, v6, -v35
	v_mul_f32_e32 v36, v36, v7
	v_fmac_f32_e32 v36, v37, v6
	v_mul_f32_e32 v37, v39, v1
	v_fma_f32 v37, v38, v0, -v37
	v_mul_f32_e32 v38, v38, v1
	v_fmac_f32_e32 v38, v39, v0
	s_waitcnt lgkmcnt(0)
	v_mul_f32_e32 v39, v41, v3
	v_fma_f32 v39, v40, v2, -v39
	v_mul_f32_e32 v40, v40, v3
	v_fmac_f32_e32 v40, v41, v2
	v_mul_f32_e32 v41, v43, v46
	v_fma_f32 v41, v42, v45, -v41
	v_mul_f32_e32 v42, v42, v46
	v_sub_f32_e32 v35, v28, v35
	v_sub_f32_e32 v39, v31, v39
	;; [unrolled: 1-line block ×4, first 2 shown]
	v_fmac_f32_e32 v42, v43, v45
	v_fma_f32 v28, v28, 2.0, -v35
	v_fma_f32 v31, v31, 2.0, -v39
	;; [unrolled: 1-line block ×4, first 2 shown]
	v_sub_f32_e32 v36, v29, v36
	v_sub_f32_e32 v40, v32, v40
	;; [unrolled: 1-line block ×6, first 2 shown]
	v_fma_f32 v29, v29, 2.0, -v36
	v_fma_f32 v32, v32, 2.0, -v40
	;; [unrolled: 1-line block ×5, first 2 shown]
	v_sub_f32_e32 v59, v35, v40
	v_add_f32_e32 v39, v36, v39
	v_fma_f32 v28, v43, 2.0, -v60
	v_sub_f32_e32 v57, v29, v32
	v_fma_f32 v35, v35, 2.0, -v59
	v_fma_f32 v36, v36, 2.0, -v39
	v_sub_f32_e32 v40, v30, v34
	v_sub_f32_e32 v61, v37, v42
	v_add_f32_e32 v62, v38, v41
	v_sub_f32_e32 v28, v31, v28
	v_fma_f32 v58, v29, 2.0, -v57
	v_fma_f32 v29, v30, 2.0, -v40
	;; [unrolled: 1-line block ×5, first 2 shown]
	v_mov_b32_e32 v30, v35
	v_mov_b32_e32 v31, v36
	;; [unrolled: 1-line block ×4, first 2 shown]
	v_fmac_f32_e32 v30, 0xbf3504f3, v34
	v_fmac_f32_e32 v31, 0xbf3504f3, v37
	;; [unrolled: 1-line block ×4, first 2 shown]
	v_sub_f32_e32 v29, v58, v29
	v_fmac_f32_e32 v30, 0xbf3504f3, v37
	v_fmac_f32_e32 v31, 0x3f3504f3, v34
	v_sub_f32_e32 v40, v56, v40
	v_add_f32_e32 v41, v57, v60
	v_fmac_f32_e32 v42, 0xbf3504f3, v62
	v_fmac_f32_e32 v43, 0x3f3504f3, v61
	v_fma_f32 v33, v58, 2.0, -v29
	v_fma_f32 v34, v35, 2.0, -v30
	;; [unrolled: 1-line block ×7, first 2 shown]
	ds_write2_b64 v54, v[32:33], v[34:35] offset1:16
	ds_write2_b64 v54, v[36:37], v[38:39] offset0:32 offset1:48
	ds_write2_b64 v54, v[28:29], v[30:31] offset0:64 offset1:80
	;; [unrolled: 1-line block ×3, first 2 shown]
	s_waitcnt lgkmcnt(0)
	s_barrier
	s_and_saveexec_b64 s[4:5], vcc
	s_cbranch_execz .LBB0_9
; %bb.8:
	global_load_dwordx2 v[58:59], v49, s[6:7] offset:1024
	ds_read_b64 v[56:57], v54
	s_add_u32 s8, s6, 0x400
	s_addc_u32 s9, s7, 0
	s_waitcnt vmcnt(0) lgkmcnt(0)
	v_mul_f32_e32 v60, v57, v59
	v_mul_f32_e32 v61, v56, v59
	v_fma_f32 v60, v56, v58, -v60
	v_fmac_f32_e32 v61, v57, v58
	ds_write_b64 v54, v[60:61]
	global_load_dwordx2 v[60:61], v49, s[8:9] offset:64
	ds_read2_b64 v[56:59], v48 offset0:8 offset1:16
	s_waitcnt vmcnt(0) lgkmcnt(0)
	v_mul_f32_e32 v62, v57, v61
	v_mul_f32_e32 v63, v56, v61
	v_fma_f32 v62, v56, v60, -v62
	v_fmac_f32_e32 v63, v57, v60
	global_load_dwordx2 v[56:57], v49, s[8:9] offset:128
	s_waitcnt vmcnt(0)
	v_mul_f32_e32 v60, v59, v57
	v_mul_f32_e32 v61, v58, v57
	v_fma_f32 v60, v58, v56, -v60
	v_fmac_f32_e32 v61, v59, v56
	ds_write2_b64 v48, v[62:63], v[60:61] offset0:8 offset1:16
	global_load_dwordx2 v[60:61], v49, s[8:9] offset:192
	ds_read2_b64 v[56:59], v48 offset0:24 offset1:32
	s_waitcnt vmcnt(0) lgkmcnt(0)
	v_mul_f32_e32 v62, v57, v61
	v_mul_f32_e32 v63, v56, v61
	v_fma_f32 v62, v56, v60, -v62
	v_fmac_f32_e32 v63, v57, v60
	global_load_dwordx2 v[56:57], v49, s[8:9] offset:256
	s_waitcnt vmcnt(0)
	v_mul_f32_e32 v60, v59, v57
	v_mul_f32_e32 v61, v58, v57
	v_fma_f32 v60, v58, v56, -v60
	v_fmac_f32_e32 v61, v59, v56
	ds_write2_b64 v48, v[62:63], v[60:61] offset0:24 offset1:32
	;; [unrolled: 14-line block ×6, first 2 shown]
	global_load_dwordx2 v[60:61], v49, s[8:9] offset:832
	ds_read2_b64 v[56:59], v48 offset0:104 offset1:112
	s_waitcnt vmcnt(0) lgkmcnt(0)
	v_mul_f32_e32 v62, v57, v61
	v_mul_f32_e32 v63, v56, v61
	v_fma_f32 v62, v56, v60, -v62
	v_fmac_f32_e32 v63, v57, v60
	global_load_dwordx2 v[56:57], v49, s[8:9] offset:896
	s_waitcnt vmcnt(0)
	v_mul_f32_e32 v60, v59, v57
	v_mul_f32_e32 v61, v58, v57
	v_fma_f32 v60, v58, v56, -v60
	v_fmac_f32_e32 v61, v59, v56
	global_load_dwordx2 v[58:59], v49, s[8:9] offset:960
	ds_read_b64 v[56:57], v48 offset:960
	ds_write2_b64 v48, v[62:63], v[60:61] offset0:104 offset1:112
	s_waitcnt vmcnt(0) lgkmcnt(1)
	v_mul_f32_e32 v60, v57, v59
	v_mul_f32_e32 v61, v56, v59
	v_fma_f32 v60, v56, v58, -v60
	v_fmac_f32_e32 v61, v57, v58
	ds_write_b64 v48, v[60:61] offset:960
.LBB0_9:
	s_or_b64 exec, exec, s[4:5]
	s_waitcnt lgkmcnt(0)
	s_barrier
	s_and_saveexec_b64 s[4:5], vcc
	s_cbranch_execz .LBB0_11
; %bb.10:
	ds_read2_b64 v[32:35], v54 offset1:8
	ds_read2_b64 v[36:39], v54 offset0:16 offset1:24
	ds_read2_b64 v[28:31], v54 offset0:32 offset1:40
	;; [unrolled: 1-line block ×7, first 2 shown]
.LBB0_11:
	s_or_b64 exec, exec, s[4:5]
	s_waitcnt lgkmcnt(0)
	s_barrier
	s_and_saveexec_b64 s[4:5], vcc
	s_cbranch_execz .LBB0_13
; %bb.12:
	v_sub_f32_e32 v56, v37, v17
	v_sub_f32_e32 v17, v40, v24
	;; [unrolled: 1-line block ×17, first 2 shown]
	v_add_f32_e32 v68, v23, v67
	v_add_f32_e32 v71, v21, v70
	v_fma_f32 v12, v40, 2.0, -v17
	v_fma_f32 v36, v36, 2.0, -v25
	v_sub_f32_e32 v24, v56, v17
	v_sub_f32_e32 v58, v57, v20
	v_add_f32_e32 v60, v13, v25
	v_sub_f32_e32 v26, v61, v16
	v_mov_b32_e32 v64, v63
	v_add_f32_e32 v66, v27, v65
	v_mov_b32_e32 v69, v68
	v_fma_f32 v17, v43, 2.0, -v27
	v_fma_f32 v27, v41, 2.0, -v13
	v_mov_b32_e32 v40, v71
	v_sub_f32_e32 v41, v36, v12
	v_fma_f32 v35, v35, 2.0, -v62
	v_fma_f32 v12, v31, 2.0, -v23
	v_mov_b32_e32 v59, v58
	v_fmac_f32_e32 v64, 0x3f3504f3, v26
	v_fmac_f32_e32 v69, 0x3f3504f3, v66
	;; [unrolled: 1-line block ×3, first 2 shown]
	v_fma_f32 v13, v29, 2.0, -v21
	v_fma_f32 v21, v34, 2.0, -v67
	v_sub_f32_e32 v43, v35, v12
	v_fma_f32 v12, v30, 2.0, -v22
	v_fmac_f32_e32 v59, 0x3f3504f3, v24
	v_fmac_f32_e32 v64, 0xbf3504f3, v66
	;; [unrolled: 1-line block ×4, first 2 shown]
	v_sub_f32_e32 v73, v21, v12
	v_fma_f32 v12, v28, 2.0, -v20
	v_fma_f32 v20, v56, 2.0, -v24
	;; [unrolled: 1-line block ×6, first 2 shown]
	v_fmac_f32_e32 v59, 0xbf3504f3, v60
	v_fma_f32 v37, v37, 2.0, -v56
	v_fma_f32 v33, v33, 2.0, -v57
	v_fma_f32 v57, v57, 2.0, -v58
	v_fma_f32 v60, v62, 2.0, -v63
	v_fma_f32 v62, v67, 2.0, -v68
	v_mov_b32_e32 v67, v66
	v_fma_f32 v16, v42, 2.0, -v16
	v_fma_f32 v38, v38, 2.0, -v65
	v_sub_f32_e32 v29, v33, v13
	v_fma_f32 v32, v32, 2.0, -v70
	v_sub_f32_e32 v22, v37, v27
	v_mov_b32_e32 v56, v57
	v_fmac_f32_e32 v67, 0xbf3504f3, v24
	v_sub_f32_e32 v31, v38, v16
	v_sub_f32_e32 v28, v32, v12
	v_fmac_f32_e32 v56, 0xbf3504f3, v20
	v_fmac_f32_e32 v67, 0x3f3504f3, v20
	v_fma_f32 v20, v37, 2.0, -v22
	v_fma_f32 v37, v33, 2.0, -v29
	;; [unrolled: 1-line block ×4, first 2 shown]
	v_sub_f32_e32 v72, v43, v31
	v_sub_f32_e32 v70, v37, v20
	v_fma_f32 v76, v21, 2.0, -v73
	v_fma_f32 v20, v38, 2.0, -v31
	;; [unrolled: 1-line block ×4, first 2 shown]
	v_mov_b32_e32 v31, v30
	v_sub_f32_e32 v34, v39, v17
	v_sub_f32_e32 v77, v76, v20
	v_fma_f32 v20, v36, 2.0, -v41
	v_fmac_f32_e32 v31, 0xbec3ef15, v32
	v_fma_f32 v33, v68, 2.0, -v69
	v_add_f32_e32 v74, v34, v73
	v_sub_f32_e32 v36, v78, v20
	v_fma_f32 v20, v39, 2.0, -v34
	v_fmac_f32_e32 v31, 0xbf6c835e, v33
	v_fma_f32 v34, v71, 2.0, -v40
	v_sub_f32_e32 v42, v29, v41
	v_fma_f32 v41, v35, 2.0, -v43
	v_fma_f32 v35, v30, 2.0, -v31
	v_mov_b32_e32 v30, v34
	v_fmac_f32_e32 v30, 0xbec3ef15, v33
	v_fmac_f32_e32 v30, 0x3f6c835e, v32
	v_fma_f32 v32, v29, 2.0, -v42
	v_fma_f32 v38, v43, 2.0, -v72
	v_mov_b32_e32 v29, v32
	v_fmac_f32_e32 v29, 0xbf3504f3, v38
	v_fma_f32 v39, v73, 2.0, -v74
	v_add_f32_e32 v75, v22, v28
	v_fmac_f32_e32 v29, 0xbf3504f3, v39
	v_fma_f32 v33, v32, 2.0, -v29
	v_fma_f32 v32, v28, 2.0, -v75
	v_mov_b32_e32 v14, v40
	v_mov_b32_e32 v61, v60
	;; [unrolled: 1-line block ×3, first 2 shown]
	v_fmac_f32_e32 v14, 0x3f6c835e, v69
	v_mov_b32_e32 v13, v42
	v_fmac_f32_e32 v56, 0xbf3504f3, v24
	v_fmac_f32_e32 v61, 0xbf3504f3, v25
	v_mov_b32_e32 v65, v62
	v_fmac_f32_e32 v28, 0xbf3504f3, v39
	v_fmac_f32_e32 v14, 0x3ec3ef15, v64
	;; [unrolled: 1-line block ×4, first 2 shown]
	v_mov_b32_e32 v23, v56
	v_fmac_f32_e32 v65, 0xbf3504f3, v26
	v_fmac_f32_e32 v28, 0x3f3504f3, v38
	v_fma_f32 v38, v57, 2.0, -v56
	v_fma_f32 v18, v40, 2.0, -v14
	v_fmac_f32_e32 v13, 0xbf3504f3, v74
	v_fmac_f32_e32 v23, 0x3ec3ef15, v61
	;; [unrolled: 1-line block ×3, first 2 shown]
	v_fma_f32 v40, v60, 2.0, -v61
	v_mov_b32_e32 v39, v38
	v_fma_f32 v17, v42, 2.0, -v13
	v_fmac_f32_e32 v23, 0xbf6c835e, v65
	v_fmac_f32_e32 v39, 0xbf6c835e, v40
	v_fma_f32 v42, v62, 2.0, -v65
	v_fma_f32 v27, v56, 2.0, -v23
	v_fmac_f32_e32 v39, 0xbec3ef15, v42
	v_fma_f32 v56, v66, 2.0, -v67
	v_fma_f32 v43, v38, 2.0, -v39
	v_mov_b32_e32 v38, v56
	v_sub_f32_e32 v79, v41, v20
	v_fmac_f32_e32 v38, 0xbf6c835e, v42
	v_fmac_f32_e32 v38, 0x3ec3ef15, v40
	v_fma_f32 v40, v37, 2.0, -v70
	v_fma_f32 v37, v41, 2.0, -v79
	v_add_f32_e32 v20, v79, v36
	v_sub_f32_e32 v37, v40, v37
	v_mov_b32_e32 v15, v59
	v_mov_b32_e32 v12, v75
	;; [unrolled: 1-line block ×3, first 2 shown]
	v_fma_f32 v24, v36, 2.0, -v20
	v_fma_f32 v41, v40, 2.0, -v37
	;; [unrolled: 1-line block ×4, first 2 shown]
	v_fmac_f32_e32 v15, 0x3f6c835e, v64
	v_fmac_f32_e32 v12, 0x3f3504f3, v74
	;; [unrolled: 1-line block ×3, first 2 shown]
	v_sub_f32_e32 v36, v40, v36
	v_fmac_f32_e32 v15, 0xbec3ef15, v69
	v_fmac_f32_e32 v12, 0x3f3504f3, v72
	;; [unrolled: 1-line block ×3, first 2 shown]
	v_sub_f32_e32 v21, v70, v77
	v_fma_f32 v42, v56, 2.0, -v38
	v_fma_f32 v40, v40, 2.0, -v36
	v_lshl_or_b32 v55, v47, 7, v55
	v_fma_f32 v19, v59, 2.0, -v15
	v_fma_f32 v16, v75, 2.0, -v12
	;; [unrolled: 1-line block ×6, first 2 shown]
	ds_write_b128 v55, v[40:43]
	ds_write_b128 v55, v[32:35] offset:16
	ds_write_b128 v55, v[24:27] offset:32
	;; [unrolled: 1-line block ×7, first 2 shown]
.LBB0_13:
	s_or_b64 exec, exec, s[4:5]
	s_waitcnt lgkmcnt(0)
	s_barrier
	ds_read2_b64 v[12:15], v54 offset1:16
	ds_read2_b64 v[16:19], v54 offset0:32 offset1:48
	ds_read2_b64 v[20:23], v54 offset0:64 offset1:80
	;; [unrolled: 1-line block ×3, first 2 shown]
	s_waitcnt lgkmcnt(3)
	v_mul_f32_e32 v28, v9, v15
	v_mul_f32_e32 v9, v9, v14
	v_fmac_f32_e32 v28, v8, v14
	v_fma_f32 v8, v8, v15, -v9
	s_waitcnt lgkmcnt(2)
	v_mul_f32_e32 v9, v11, v17
	v_mul_f32_e32 v11, v11, v16
	v_fmac_f32_e32 v9, v10, v16
	v_fma_f32 v10, v10, v17, -v11
	v_mul_f32_e32 v11, v5, v19
	v_mul_f32_e32 v5, v5, v18
	v_fmac_f32_e32 v11, v4, v18
	v_fma_f32 v4, v4, v19, -v5
	s_waitcnt lgkmcnt(1)
	v_mul_f32_e32 v5, v7, v21
	v_mul_f32_e32 v7, v7, v20
	v_fmac_f32_e32 v5, v6, v20
	v_fma_f32 v6, v6, v21, -v7
	;; [unrolled: 9-line block ×3, first 2 shown]
	v_mul_f32_e32 v3, v46, v27
	v_fmac_f32_e32 v3, v45, v26
	v_mul_f32_e32 v14, v46, v26
	v_sub_f32_e32 v5, v12, v5
	v_sub_f32_e32 v6, v13, v6
	;; [unrolled: 1-line block ×6, first 2 shown]
	v_fma_f32 v14, v45, v27, -v14
	v_fma_f32 v12, v12, 2.0, -v5
	v_fma_f32 v13, v13, 2.0, -v6
	;; [unrolled: 1-line block ×6, first 2 shown]
	v_sub_f32_e32 v0, v8, v0
	v_sub_f32_e32 v14, v4, v14
	;; [unrolled: 1-line block ×4, first 2 shown]
	v_add_f32_e32 v18, v5, v2
	v_sub_f32_e32 v19, v6, v1
	v_sub_f32_e32 v11, v15, v11
	v_fma_f32 v8, v8, 2.0, -v0
	v_fma_f32 v4, v4, 2.0, -v14
	v_fma_f32 v9, v12, 2.0, -v16
	v_fma_f32 v10, v13, 2.0, -v17
	v_fma_f32 v12, v5, 2.0, -v18
	v_fma_f32 v13, v6, 2.0, -v19
	v_fma_f32 v1, v15, 2.0, -v11
	v_add_f32_e32 v14, v7, v14
	v_sub_f32_e32 v15, v0, v3
	v_sub_f32_e32 v20, v8, v4
	v_fma_f32 v6, v7, 2.0, -v14
	v_fma_f32 v7, v0, 2.0, -v15
	v_mov_b32_e32 v4, v12
	v_mov_b32_e32 v5, v13
	v_fmac_f32_e32 v4, 0xbf3504f3, v6
	v_fmac_f32_e32 v5, 0xbf3504f3, v7
	;; [unrolled: 1-line block ×4, first 2 shown]
	v_fma_f32 v2, v8, 2.0, -v20
	v_fma_f32 v6, v12, 2.0, -v4
	v_fma_f32 v7, v13, 2.0, -v5
	v_mov_b32_e32 v12, v18
	v_mov_b32_e32 v13, v19
	v_sub_f32_e32 v0, v9, v1
	v_sub_f32_e32 v1, v10, v2
	v_fmac_f32_e32 v12, 0x3f3504f3, v14
	v_fmac_f32_e32 v13, 0x3f3504f3, v15
	v_fma_f32 v2, v9, 2.0, -v0
	v_fma_f32 v3, v10, 2.0, -v1
	v_add_f32_e32 v8, v16, v20
	v_sub_f32_e32 v9, v17, v11
	v_fmac_f32_e32 v12, 0x3f3504f3, v15
	v_fmac_f32_e32 v13, 0xbf3504f3, v14
	v_fma_f32 v10, v16, 2.0, -v8
	v_fma_f32 v11, v17, 2.0, -v9
	;; [unrolled: 1-line block ×4, first 2 shown]
	ds_write2_b64 v54, v[2:3], v[6:7] offset1:16
	ds_write2_b64 v54, v[10:11], v[14:15] offset0:32 offset1:48
	ds_write2_b64 v54, v[0:1], v[4:5] offset0:64 offset1:80
	;; [unrolled: 1-line block ×3, first 2 shown]
	s_waitcnt lgkmcnt(0)
	s_barrier
	s_and_b64 exec, exec, vcc
	s_cbranch_execz .LBB0_15
; %bb.14:
	global_load_dwordx2 v[8:9], v49, s[6:7]
	global_load_dwordx2 v[10:11], v49, s[6:7] offset:64
	global_load_dwordx2 v[12:13], v49, s[6:7] offset:128
	;; [unrolled: 1-line block ×4, first 2 shown]
	ds_read_b64 v[18:19], v54
	ds_read2_b64 v[0:3], v48 offset0:8 offset1:16
	ds_read2_b64 v[4:7], v48 offset0:24 offset1:32
	global_load_dwordx2 v[28:29], v49, s[6:7] offset:320
	global_load_dwordx2 v[30:31], v49, s[6:7] offset:384
	;; [unrolled: 1-line block ×4, first 2 shown]
	v_mad_u64_u32 v[16:17], s[4:5], s2, v44, 0
	v_mad_u64_u32 v[20:21], s[4:5], s0, v47, 0
	;; [unrolled: 1-line block ×4, first 2 shown]
	s_waitcnt lgkmcnt(2)
	v_mad_u64_u32 v[36:37], s[2:3], s3, v44, v[17:18]
	v_mov_b32_e32 v41, s13
	s_lshl_b64 s[4:5], s[0:1], 7
	v_mov_b32_e32 v17, v36
	v_lshlrev_b64 v[16:17], 3, v[16:17]
	v_mov_b32_e32 v42, s5
	v_add_co_u32_e32 v36, vcc, s12, v16
	s_waitcnt vmcnt(4)
	v_mad_u64_u32 v[37:38], s[2:3], s1, v47, v[21:22]
	v_mad_u64_u32 v[38:39], s[2:3], s1, v52, v[25:26]
	v_mov_b32_e32 v21, v37
	v_lshlrev_b64 v[20:21], 3, v[20:21]
	v_mov_b32_e32 v25, v38
	v_addc_co_u32_e32 v37, vcc, v41, v17, vcc
	v_lshlrev_b64 v[24:25], 3, v[24:25]
	v_add_co_u32_e32 v16, vcc, v36, v20
	v_addc_co_u32_e32 v17, vcc, v37, v21, vcc
	s_waitcnt vmcnt(3)
	v_mad_u64_u32 v[39:40], s[2:3], s1, v53, v[27:28]
	v_add_co_u32_e32 v20, vcc, v36, v24
	v_mul_f32_e32 v27, v19, v9
	v_mul_f32_e32 v9, v18, v9
	v_addc_co_u32_e32 v21, vcc, v37, v25, vcc
	s_waitcnt lgkmcnt(1)
	v_mul_f32_e32 v38, v1, v11
	v_mul_f32_e32 v11, v0, v11
	;; [unrolled: 1-line block ×4, first 2 shown]
	v_fmac_f32_e32 v27, v18, v8
	v_fma_f32 v8, v8, v19, -v9
	v_add_co_u32_e32 v24, vcc, s4, v16
	s_waitcnt lgkmcnt(0)
	v_mul_f32_e32 v41, v5, v15
	v_mul_f32_e32 v15, v4, v15
	v_fmac_f32_e32 v38, v0, v10
	v_fma_f32 v9, v10, v1, -v11
	v_fmac_f32_e32 v40, v2, v12
	v_fma_f32 v10, v12, v3, -v13
	v_mul_f32_e32 v0, 0x3c000000, v27
	v_mul_f32_e32 v1, 0x3c000000, v8
	v_addc_co_u32_e32 v25, vcc, v17, v42, vcc
	v_fmac_f32_e32 v41, v4, v14
	v_fma_f32 v11, v14, v5, -v15
	v_mul_f32_e32 v2, 0x3c000000, v38
	v_mul_f32_e32 v3, 0x3c000000, v9
	;; [unrolled: 1-line block ×4, first 2 shown]
	global_store_dwordx2 v[16:17], v[0:1], off
	global_store_dwordx2 v[20:21], v[2:3], off
	global_store_dwordx2 v[24:25], v[4:5], off
	global_load_dwordx2 v[4:5], v49, s[6:7] offset:576
	v_mov_b32_e32 v27, v39
	global_load_dwordx2 v[12:13], v49, s[6:7] offset:640
	v_lshlrev_b64 v[0:1], 3, v[26:27]
	v_mul_f32_e32 v8, 0x3c000000, v41
	v_add_co_u32_e32 v0, vcc, v36, v0
	v_mul_f32_e32 v9, 0x3c000000, v11
	v_addc_co_u32_e32 v1, vcc, v37, v1, vcc
	global_store_dwordx2 v[0:1], v[8:9], off
	v_mul_f32_e32 v0, v7, v23
	v_fmac_f32_e32 v0, v6, v22
	v_mul_f32_e32 v8, 0x3c000000, v0
	v_mul_f32_e32 v0, v6, v23
	v_fma_f32 v0, v22, v7, -v0
	v_mul_f32_e32 v9, 0x3c000000, v0
	ds_read2_b64 v[0:3], v48 offset0:40 offset1:48
	v_add_co_u32_e32 v6, vcc, s4, v24
	v_addc_co_u32_e32 v7, vcc, v25, v42, vcc
	global_store_dwordx2 v[6:7], v[8:9], off
	v_mad_u64_u32 v[8:9], s[2:3], s0, v51, 0
	s_waitcnt lgkmcnt(0)
	v_mul_f32_e32 v10, v1, v29
	v_fmac_f32_e32 v10, v0, v28
	v_mul_f32_e32 v10, 0x3c000000, v10
	v_mad_u64_u32 v[14:15], s[2:3], s1, v51, v[9:10]
	v_mul_f32_e32 v0, v0, v29
	v_fma_f32 v0, v28, v1, -v0
	v_mov_b32_e32 v9, v14
	v_mul_f32_e32 v11, 0x3c000000, v0
	v_lshlrev_b64 v[0:1], 3, v[8:9]
	global_load_dwordx2 v[8:9], v49, s[6:7] offset:704
	global_load_dwordx2 v[14:15], v49, s[6:7] offset:768
	v_add_co_u32_e32 v0, vcc, v36, v0
	v_addc_co_u32_e32 v1, vcc, v37, v1, vcc
	global_store_dwordx2 v[0:1], v[10:11], off
	s_waitcnt vmcnt(12)
	v_mul_f32_e32 v0, v3, v31
	v_fmac_f32_e32 v0, v2, v30
	v_mul_f32_e32 v10, 0x3c000000, v0
	v_mul_f32_e32 v0, v2, v31
	v_fma_f32 v0, v30, v3, -v0
	v_add_co_u32_e32 v6, vcc, s4, v6
	v_mul_f32_e32 v11, 0x3c000000, v0
	v_addc_co_u32_e32 v7, vcc, v7, v42, vcc
	global_store_dwordx2 v[6:7], v[10:11], off
	v_mad_u64_u32 v[10:11], s[2:3], s0, v50, 0
	ds_read2_b64 v[0:3], v48 offset0:56 offset1:64
	v_or_b32_e32 v21, 0x48, v47
	s_waitcnt vmcnt(12) lgkmcnt(0)
	v_mul_f32_e32 v16, v1, v33
	v_fmac_f32_e32 v16, v0, v32
	v_mul_f32_e32 v0, v0, v33
	v_fma_f32 v0, v32, v1, -v0
	v_mul_f32_e32 v17, 0x3c000000, v0
	v_mul_f32_e32 v16, 0x3c000000, v16
	s_waitcnt vmcnt(6)
	v_mad_u64_u32 v[18:19], s[2:3], s1, v50, v[11:12]
	v_mov_b32_e32 v11, v18
	v_lshlrev_b64 v[0:1], 3, v[10:11]
	global_load_dwordx2 v[10:11], v49, s[6:7] offset:832
	global_load_dwordx2 v[18:19], v49, s[6:7] offset:896
	v_add_co_u32_e32 v0, vcc, v36, v0
	v_addc_co_u32_e32 v1, vcc, v37, v1, vcc
	global_store_dwordx2 v[0:1], v[16:17], off
	v_mul_f32_e32 v0, v3, v35
	v_mul_f32_e32 v1, v2, v35
	v_fmac_f32_e32 v0, v2, v34
	v_fma_f32 v1, v34, v3, -v1
	v_add_co_u32_e32 v6, vcc, s4, v6
	v_mul_f32_e32 v0, 0x3c000000, v0
	v_mul_f32_e32 v1, 0x3c000000, v1
	v_addc_co_u32_e32 v7, vcc, v7, v42, vcc
	global_store_dwordx2 v[6:7], v[0:1], off
	ds_read2_b64 v[0:3], v48 offset0:72 offset1:80
	v_mad_u64_u32 v[16:17], s[2:3], s0, v21, 0
	s_waitcnt lgkmcnt(0)
	v_mul_f32_e32 v20, v1, v5
	v_fmac_f32_e32 v20, v0, v4
	v_mul_f32_e32 v0, v0, v5
	v_fma_f32 v0, v4, v1, -v0
	global_load_dwordx2 v[4:5], v49, s[6:7] offset:960
	v_mul_f32_e32 v20, 0x3c000000, v20
	s_waitcnt vmcnt(3)
	v_mad_u64_u32 v[22:23], s[2:3], s1, v21, v[17:18]
	v_mul_f32_e32 v21, 0x3c000000, v0
	v_mov_b32_e32 v17, v22
	v_lshlrev_b64 v[0:1], 3, v[16:17]
	v_add_co_u32_e32 v0, vcc, v36, v0
	v_addc_co_u32_e32 v1, vcc, v37, v1, vcc
	global_store_dwordx2 v[0:1], v[20:21], off
	v_mul_f32_e32 v0, v3, v13
	v_fmac_f32_e32 v0, v2, v12
	v_mul_f32_e32 v16, 0x3c000000, v0
	v_mul_f32_e32 v0, v2, v13
	v_fma_f32 v0, v12, v3, -v0
	v_add_co_u32_e32 v6, vcc, s4, v6
	v_mul_f32_e32 v17, 0x3c000000, v0
	v_addc_co_u32_e32 v7, vcc, v7, v42, vcc
	global_store_dwordx2 v[6:7], v[16:17], off
	v_or_b32_e32 v17, 0x58, v47
	v_mad_u64_u32 v[12:13], s[2:3], s0, v17, 0
	ds_read2_b64 v[0:3], v48 offset0:88 offset1:96
	v_mad_u64_u32 v[20:21], s[2:3], s1, v17, v[13:14]
	s_waitcnt lgkmcnt(0)
	v_mul_f32_e32 v16, v1, v9
	v_fmac_f32_e32 v16, v0, v8
	v_mul_f32_e32 v0, v0, v9
	v_fma_f32 v0, v8, v1, -v0
	v_mov_b32_e32 v13, v20
	v_mul_f32_e32 v17, 0x3c000000, v0
	v_lshlrev_b64 v[0:1], 3, v[12:13]
	v_mul_f32_e32 v16, 0x3c000000, v16
	v_add_co_u32_e32 v0, vcc, v36, v0
	v_addc_co_u32_e32 v1, vcc, v37, v1, vcc
	global_store_dwordx2 v[0:1], v[16:17], off
	v_mul_f32_e32 v0, v3, v15
	v_fmac_f32_e32 v0, v2, v14
	v_mul_f32_e32 v8, 0x3c000000, v0
	v_mul_f32_e32 v0, v2, v15
	v_fma_f32 v0, v14, v3, -v0
	v_add_co_u32_e32 v6, vcc, s4, v6
	v_mul_f32_e32 v9, 0x3c000000, v0
	v_addc_co_u32_e32 v7, vcc, v7, v42, vcc
	v_or_b32_e32 v13, 0x68, v47
	global_store_dwordx2 v[6:7], v[8:9], off
	v_mad_u64_u32 v[8:9], s[2:3], s0, v13, 0
	ds_read2_b64 v[0:3], v48 offset0:104 offset1:112
	v_mad_u64_u32 v[14:15], s[2:3], s1, v13, v[9:10]
	s_waitcnt lgkmcnt(0)
	v_mul_f32_e32 v12, v1, v11
	v_fmac_f32_e32 v12, v0, v10
	v_mul_f32_e32 v0, v0, v11
	v_fma_f32 v0, v10, v1, -v0
	v_mov_b32_e32 v9, v14
	v_mul_f32_e32 v13, 0x3c000000, v0
	v_lshlrev_b64 v[0:1], 3, v[8:9]
	v_mul_f32_e32 v12, 0x3c000000, v12
	v_add_co_u32_e32 v0, vcc, v36, v0
	v_addc_co_u32_e32 v1, vcc, v37, v1, vcc
	global_store_dwordx2 v[0:1], v[12:13], off
	v_mul_f32_e32 v0, v3, v19
	v_fmac_f32_e32 v0, v2, v18
	v_mul_f32_e32 v1, v2, v19
	v_add_co_u32_e32 v2, vcc, s4, v6
	v_fma_f32 v1, v18, v3, -v1
	v_addc_co_u32_e32 v3, vcc, v7, v42, vcc
	ds_read_b64 v[6:7], v48 offset:960
	v_mul_f32_e32 v0, 0x3c000000, v0
	v_mul_f32_e32 v1, 0x3c000000, v1
	global_store_dwordx2 v[2:3], v[0:1], off
	v_or_b32_e32 v3, 0x78, v47
	v_mad_u64_u32 v[0:1], s[2:3], s0, v3, 0
	s_waitcnt vmcnt(6) lgkmcnt(0)
	v_mul_f32_e32 v2, v7, v5
	v_fmac_f32_e32 v2, v6, v4
	v_mul_f32_e32 v2, 0x3c000000, v2
	v_mad_u64_u32 v[8:9], s[0:1], s1, v3, v[1:2]
	v_mul_f32_e32 v1, v6, v5
	v_fma_f32 v1, v4, v7, -v1
	v_mul_f32_e32 v3, 0x3c000000, v1
	v_mov_b32_e32 v1, v8
	v_lshlrev_b64 v[0:1], 3, v[0:1]
	v_add_co_u32_e32 v0, vcc, v36, v0
	v_addc_co_u32_e32 v1, vcc, v37, v1, vcc
	global_store_dwordx2 v[0:1], v[2:3], off
.LBB0_15:
	s_endpgm
	.section	.rodata,"a",@progbits
	.p2align	6, 0x0
	.amdhsa_kernel bluestein_single_back_len128_dim1_sp_op_CI_CI
		.amdhsa_group_segment_fixed_size 16384
		.amdhsa_private_segment_fixed_size 0
		.amdhsa_kernarg_size 104
		.amdhsa_user_sgpr_count 6
		.amdhsa_user_sgpr_private_segment_buffer 1
		.amdhsa_user_sgpr_dispatch_ptr 0
		.amdhsa_user_sgpr_queue_ptr 0
		.amdhsa_user_sgpr_kernarg_segment_ptr 1
		.amdhsa_user_sgpr_dispatch_id 0
		.amdhsa_user_sgpr_flat_scratch_init 0
		.amdhsa_user_sgpr_private_segment_size 0
		.amdhsa_uses_dynamic_stack 0
		.amdhsa_system_sgpr_private_segment_wavefront_offset 0
		.amdhsa_system_sgpr_workgroup_id_x 1
		.amdhsa_system_sgpr_workgroup_id_y 0
		.amdhsa_system_sgpr_workgroup_id_z 0
		.amdhsa_system_sgpr_workgroup_info 0
		.amdhsa_system_vgpr_workitem_id 0
		.amdhsa_next_free_vgpr 80
		.amdhsa_next_free_sgpr 16
		.amdhsa_reserve_vcc 1
		.amdhsa_reserve_flat_scratch 0
		.amdhsa_float_round_mode_32 0
		.amdhsa_float_round_mode_16_64 0
		.amdhsa_float_denorm_mode_32 3
		.amdhsa_float_denorm_mode_16_64 3
		.amdhsa_dx10_clamp 1
		.amdhsa_ieee_mode 1
		.amdhsa_fp16_overflow 0
		.amdhsa_exception_fp_ieee_invalid_op 0
		.amdhsa_exception_fp_denorm_src 0
		.amdhsa_exception_fp_ieee_div_zero 0
		.amdhsa_exception_fp_ieee_overflow 0
		.amdhsa_exception_fp_ieee_underflow 0
		.amdhsa_exception_fp_ieee_inexact 0
		.amdhsa_exception_int_div_zero 0
	.end_amdhsa_kernel
	.text
.Lfunc_end0:
	.size	bluestein_single_back_len128_dim1_sp_op_CI_CI, .Lfunc_end0-bluestein_single_back_len128_dim1_sp_op_CI_CI
                                        ; -- End function
	.section	.AMDGPU.csdata,"",@progbits
; Kernel info:
; codeLenInByte = 7368
; NumSgprs: 20
; NumVgprs: 80
; ScratchSize: 0
; MemoryBound: 0
; FloatMode: 240
; IeeeMode: 1
; LDSByteSize: 16384 bytes/workgroup (compile time only)
; SGPRBlocks: 2
; VGPRBlocks: 19
; NumSGPRsForWavesPerEU: 20
; NumVGPRsForWavesPerEU: 80
; Occupancy: 3
; WaveLimiterHint : 1
; COMPUTE_PGM_RSRC2:SCRATCH_EN: 0
; COMPUTE_PGM_RSRC2:USER_SGPR: 6
; COMPUTE_PGM_RSRC2:TRAP_HANDLER: 0
; COMPUTE_PGM_RSRC2:TGID_X_EN: 1
; COMPUTE_PGM_RSRC2:TGID_Y_EN: 0
; COMPUTE_PGM_RSRC2:TGID_Z_EN: 0
; COMPUTE_PGM_RSRC2:TIDIG_COMP_CNT: 0
	.type	__hip_cuid_f90f8c4eaf9bc606,@object ; @__hip_cuid_f90f8c4eaf9bc606
	.section	.bss,"aw",@nobits
	.globl	__hip_cuid_f90f8c4eaf9bc606
__hip_cuid_f90f8c4eaf9bc606:
	.byte	0                               ; 0x0
	.size	__hip_cuid_f90f8c4eaf9bc606, 1

	.ident	"AMD clang version 19.0.0git (https://github.com/RadeonOpenCompute/llvm-project roc-6.4.0 25133 c7fe45cf4b819c5991fe208aaa96edf142730f1d)"
	.section	".note.GNU-stack","",@progbits
	.addrsig
	.addrsig_sym __hip_cuid_f90f8c4eaf9bc606
	.amdgpu_metadata
---
amdhsa.kernels:
  - .args:
      - .actual_access:  read_only
        .address_space:  global
        .offset:         0
        .size:           8
        .value_kind:     global_buffer
      - .actual_access:  read_only
        .address_space:  global
        .offset:         8
        .size:           8
        .value_kind:     global_buffer
      - .actual_access:  read_only
        .address_space:  global
        .offset:         16
        .size:           8
        .value_kind:     global_buffer
      - .actual_access:  read_only
        .address_space:  global
        .offset:         24
        .size:           8
        .value_kind:     global_buffer
      - .actual_access:  read_only
        .address_space:  global
        .offset:         32
        .size:           8
        .value_kind:     global_buffer
      - .offset:         40
        .size:           8
        .value_kind:     by_value
      - .address_space:  global
        .offset:         48
        .size:           8
        .value_kind:     global_buffer
      - .address_space:  global
        .offset:         56
        .size:           8
        .value_kind:     global_buffer
      - .address_space:  global
        .offset:         64
        .size:           8
        .value_kind:     global_buffer
      - .address_space:  global
        .offset:         72
        .size:           8
        .value_kind:     global_buffer
      - .offset:         80
        .size:           4
        .value_kind:     by_value
      - .address_space:  global
        .offset:         88
        .size:           8
        .value_kind:     global_buffer
      - .address_space:  global
        .offset:         96
        .size:           8
        .value_kind:     global_buffer
    .group_segment_fixed_size: 16384
    .kernarg_segment_align: 8
    .kernarg_segment_size: 104
    .language:       OpenCL C
    .language_version:
      - 2
      - 0
    .max_flat_workgroup_size: 256
    .name:           bluestein_single_back_len128_dim1_sp_op_CI_CI
    .private_segment_fixed_size: 0
    .sgpr_count:     20
    .sgpr_spill_count: 0
    .symbol:         bluestein_single_back_len128_dim1_sp_op_CI_CI.kd
    .uniform_work_group_size: 1
    .uses_dynamic_stack: false
    .vgpr_count:     80
    .vgpr_spill_count: 0
    .wavefront_size: 64
amdhsa.target:   amdgcn-amd-amdhsa--gfx906
amdhsa.version:
  - 1
  - 2
...

	.end_amdgpu_metadata
